;; amdgpu-corpus repo=ROCm/rocFFT kind=compiled arch=gfx1030 opt=O3
	.text
	.amdgcn_target "amdgcn-amd-amdhsa--gfx1030"
	.amdhsa_code_object_version 6
	.protected	fft_rtc_fwd_len432_factors_3_16_3_3_wgs_54_tpt_27_halfLds_sp_ip_CI_sbrr_dirReg ; -- Begin function fft_rtc_fwd_len432_factors_3_16_3_3_wgs_54_tpt_27_halfLds_sp_ip_CI_sbrr_dirReg
	.globl	fft_rtc_fwd_len432_factors_3_16_3_3_wgs_54_tpt_27_halfLds_sp_ip_CI_sbrr_dirReg
	.p2align	8
	.type	fft_rtc_fwd_len432_factors_3_16_3_3_wgs_54_tpt_27_halfLds_sp_ip_CI_sbrr_dirReg,@function
fft_rtc_fwd_len432_factors_3_16_3_3_wgs_54_tpt_27_halfLds_sp_ip_CI_sbrr_dirReg: ; @fft_rtc_fwd_len432_factors_3_16_3_3_wgs_54_tpt_27_halfLds_sp_ip_CI_sbrr_dirReg
; %bb.0:
	s_clause 0x2
	s_load_dwordx2 s[14:15], s[4:5], 0x18
	s_load_dwordx4 s[8:11], s[4:5], 0x0
	s_load_dwordx2 s[12:13], s[4:5], 0x50
	v_mul_u32_u24_e32 v1, 0x97c, v0
	v_mov_b32_e32 v3, 0
	v_lshrrev_b32_e32 v58, 16, v1
	v_mov_b32_e32 v1, 0
	v_mov_b32_e32 v6, v3
	v_mov_b32_e32 v2, 0
	v_lshl_add_u32 v5, s6, 1, v58
	s_waitcnt lgkmcnt(0)
	s_load_dwordx2 s[2:3], s[14:15], 0x0
	v_cmp_lt_u64_e64 s0, s[10:11], 2
	s_and_b32 vcc_lo, exec_lo, s0
	s_cbranch_vccnz .LBB0_8
; %bb.1:
	s_load_dwordx2 s[0:1], s[4:5], 0x10
	v_mov_b32_e32 v1, 0
	s_add_u32 s6, s14, 8
	v_mov_b32_e32 v2, 0
	s_addc_u32 s7, s15, 0
	s_mov_b64 s[18:19], 1
	s_waitcnt lgkmcnt(0)
	s_add_u32 s16, s0, 8
	s_addc_u32 s17, s1, 0
.LBB0_2:                                ; =>This Inner Loop Header: Depth=1
	s_load_dwordx2 s[20:21], s[16:17], 0x0
                                        ; implicit-def: $vgpr7_vgpr8
	s_mov_b32 s0, exec_lo
	s_waitcnt lgkmcnt(0)
	v_or_b32_e32 v4, s21, v6
	v_cmpx_ne_u64_e32 0, v[3:4]
	s_xor_b32 s1, exec_lo, s0
	s_cbranch_execz .LBB0_4
; %bb.3:                                ;   in Loop: Header=BB0_2 Depth=1
	v_cvt_f32_u32_e32 v4, s20
	v_cvt_f32_u32_e32 v7, s21
	s_sub_u32 s0, 0, s20
	s_subb_u32 s22, 0, s21
	v_fmac_f32_e32 v4, 0x4f800000, v7
	v_rcp_f32_e32 v4, v4
	v_mul_f32_e32 v4, 0x5f7ffffc, v4
	v_mul_f32_e32 v7, 0x2f800000, v4
	v_trunc_f32_e32 v7, v7
	v_fmac_f32_e32 v4, 0xcf800000, v7
	v_cvt_u32_f32_e32 v7, v7
	v_cvt_u32_f32_e32 v4, v4
	v_mul_lo_u32 v8, s0, v7
	v_mul_hi_u32 v9, s0, v4
	v_mul_lo_u32 v10, s22, v4
	v_add_nc_u32_e32 v8, v9, v8
	v_mul_lo_u32 v9, s0, v4
	v_add_nc_u32_e32 v8, v8, v10
	v_mul_hi_u32 v10, v4, v9
	v_mul_lo_u32 v11, v4, v8
	v_mul_hi_u32 v12, v4, v8
	v_mul_hi_u32 v13, v7, v9
	v_mul_lo_u32 v9, v7, v9
	v_mul_hi_u32 v14, v7, v8
	v_mul_lo_u32 v8, v7, v8
	v_add_co_u32 v10, vcc_lo, v10, v11
	v_add_co_ci_u32_e32 v11, vcc_lo, 0, v12, vcc_lo
	v_add_co_u32 v9, vcc_lo, v10, v9
	v_add_co_ci_u32_e32 v9, vcc_lo, v11, v13, vcc_lo
	v_add_co_ci_u32_e32 v10, vcc_lo, 0, v14, vcc_lo
	v_add_co_u32 v8, vcc_lo, v9, v8
	v_add_co_ci_u32_e32 v9, vcc_lo, 0, v10, vcc_lo
	v_add_co_u32 v4, vcc_lo, v4, v8
	v_add_co_ci_u32_e32 v7, vcc_lo, v7, v9, vcc_lo
	v_mul_hi_u32 v8, s0, v4
	v_mul_lo_u32 v10, s22, v4
	v_mul_lo_u32 v9, s0, v7
	v_add_nc_u32_e32 v8, v8, v9
	v_mul_lo_u32 v9, s0, v4
	v_add_nc_u32_e32 v8, v8, v10
	v_mul_hi_u32 v10, v4, v9
	v_mul_lo_u32 v11, v4, v8
	v_mul_hi_u32 v12, v4, v8
	v_mul_hi_u32 v13, v7, v9
	v_mul_lo_u32 v9, v7, v9
	v_mul_hi_u32 v14, v7, v8
	v_mul_lo_u32 v8, v7, v8
	v_add_co_u32 v10, vcc_lo, v10, v11
	v_add_co_ci_u32_e32 v11, vcc_lo, 0, v12, vcc_lo
	v_add_co_u32 v9, vcc_lo, v10, v9
	v_add_co_ci_u32_e32 v9, vcc_lo, v11, v13, vcc_lo
	v_add_co_ci_u32_e32 v10, vcc_lo, 0, v14, vcc_lo
	v_add_co_u32 v8, vcc_lo, v9, v8
	v_add_co_ci_u32_e32 v9, vcc_lo, 0, v10, vcc_lo
	v_add_co_u32 v4, vcc_lo, v4, v8
	v_add_co_ci_u32_e32 v11, vcc_lo, v7, v9, vcc_lo
	v_mul_hi_u32 v13, v5, v4
	v_mad_u64_u32 v[9:10], null, v6, v4, 0
	v_mad_u64_u32 v[7:8], null, v5, v11, 0
	;; [unrolled: 1-line block ×3, first 2 shown]
	v_add_co_u32 v4, vcc_lo, v13, v7
	v_add_co_ci_u32_e32 v7, vcc_lo, 0, v8, vcc_lo
	v_add_co_u32 v4, vcc_lo, v4, v9
	v_add_co_ci_u32_e32 v4, vcc_lo, v7, v10, vcc_lo
	v_add_co_ci_u32_e32 v7, vcc_lo, 0, v12, vcc_lo
	v_add_co_u32 v4, vcc_lo, v4, v11
	v_add_co_ci_u32_e32 v9, vcc_lo, 0, v7, vcc_lo
	v_mul_lo_u32 v10, s21, v4
	v_mad_u64_u32 v[7:8], null, s20, v4, 0
	v_mul_lo_u32 v11, s20, v9
	v_sub_co_u32 v7, vcc_lo, v5, v7
	v_add3_u32 v8, v8, v11, v10
	v_sub_nc_u32_e32 v10, v6, v8
	v_subrev_co_ci_u32_e64 v10, s0, s21, v10, vcc_lo
	v_add_co_u32 v11, s0, v4, 2
	v_add_co_ci_u32_e64 v12, s0, 0, v9, s0
	v_sub_co_u32 v13, s0, v7, s20
	v_sub_co_ci_u32_e32 v8, vcc_lo, v6, v8, vcc_lo
	v_subrev_co_ci_u32_e64 v10, s0, 0, v10, s0
	v_cmp_le_u32_e32 vcc_lo, s20, v13
	v_cmp_eq_u32_e64 s0, s21, v8
	v_cndmask_b32_e64 v13, 0, -1, vcc_lo
	v_cmp_le_u32_e32 vcc_lo, s21, v10
	v_cndmask_b32_e64 v14, 0, -1, vcc_lo
	v_cmp_le_u32_e32 vcc_lo, s20, v7
	;; [unrolled: 2-line block ×3, first 2 shown]
	v_cndmask_b32_e64 v15, 0, -1, vcc_lo
	v_cmp_eq_u32_e32 vcc_lo, s21, v10
	v_cndmask_b32_e64 v7, v15, v7, s0
	v_cndmask_b32_e32 v10, v14, v13, vcc_lo
	v_add_co_u32 v13, vcc_lo, v4, 1
	v_add_co_ci_u32_e32 v14, vcc_lo, 0, v9, vcc_lo
	v_cmp_ne_u32_e32 vcc_lo, 0, v10
	v_cndmask_b32_e32 v8, v14, v12, vcc_lo
	v_cndmask_b32_e32 v10, v13, v11, vcc_lo
	v_cmp_ne_u32_e32 vcc_lo, 0, v7
	v_cndmask_b32_e32 v8, v9, v8, vcc_lo
	v_cndmask_b32_e32 v7, v4, v10, vcc_lo
.LBB0_4:                                ;   in Loop: Header=BB0_2 Depth=1
	s_andn2_saveexec_b32 s0, s1
	s_cbranch_execz .LBB0_6
; %bb.5:                                ;   in Loop: Header=BB0_2 Depth=1
	v_cvt_f32_u32_e32 v4, s20
	s_sub_i32 s1, 0, s20
	v_rcp_iflag_f32_e32 v4, v4
	v_mul_f32_e32 v4, 0x4f7ffffe, v4
	v_cvt_u32_f32_e32 v4, v4
	v_mul_lo_u32 v7, s1, v4
	v_mul_hi_u32 v7, v4, v7
	v_add_nc_u32_e32 v4, v4, v7
	v_mul_hi_u32 v4, v5, v4
	v_mul_lo_u32 v7, v4, s20
	v_add_nc_u32_e32 v8, 1, v4
	v_sub_nc_u32_e32 v7, v5, v7
	v_subrev_nc_u32_e32 v9, s20, v7
	v_cmp_le_u32_e32 vcc_lo, s20, v7
	v_cndmask_b32_e32 v7, v7, v9, vcc_lo
	v_cndmask_b32_e32 v4, v4, v8, vcc_lo
	v_cmp_le_u32_e32 vcc_lo, s20, v7
	v_add_nc_u32_e32 v8, 1, v4
	v_cndmask_b32_e32 v7, v4, v8, vcc_lo
	v_mov_b32_e32 v8, v3
.LBB0_6:                                ;   in Loop: Header=BB0_2 Depth=1
	s_or_b32 exec_lo, exec_lo, s0
	s_load_dwordx2 s[0:1], s[6:7], 0x0
	v_mul_lo_u32 v4, v8, s20
	v_mul_lo_u32 v11, v7, s21
	v_mad_u64_u32 v[9:10], null, v7, s20, 0
	s_add_u32 s18, s18, 1
	s_addc_u32 s19, s19, 0
	s_add_u32 s6, s6, 8
	s_addc_u32 s7, s7, 0
	s_add_u32 s16, s16, 8
	s_addc_u32 s17, s17, 0
	v_add3_u32 v4, v10, v11, v4
	v_sub_co_u32 v5, vcc_lo, v5, v9
	v_sub_co_ci_u32_e32 v4, vcc_lo, v6, v4, vcc_lo
	s_waitcnt lgkmcnt(0)
	v_mul_lo_u32 v6, s1, v5
	v_mul_lo_u32 v4, s0, v4
	v_mad_u64_u32 v[1:2], null, s0, v5, v[1:2]
	v_cmp_ge_u64_e64 s0, s[18:19], s[10:11]
	s_and_b32 vcc_lo, exec_lo, s0
	v_add3_u32 v2, v6, v2, v4
	s_cbranch_vccnz .LBB0_9
; %bb.7:                                ;   in Loop: Header=BB0_2 Depth=1
	v_mov_b32_e32 v5, v7
	v_mov_b32_e32 v6, v8
	s_branch .LBB0_2
.LBB0_8:
	v_mov_b32_e32 v8, v6
	v_mov_b32_e32 v7, v5
.LBB0_9:
	s_lshl_b64 s[0:1], s[10:11], 3
	v_mul_hi_u32 v3, 0x97b425f, v0
	s_add_u32 s0, s14, s0
	s_addc_u32 s1, s15, s1
	s_load_dwordx2 s[4:5], s[4:5], 0x20
	s_load_dwordx2 s[0:1], s[0:1], 0x0
                                        ; implicit-def: $vgpr54
                                        ; implicit-def: $vgpr55
                                        ; implicit-def: $vgpr56
                                        ; implicit-def: $vgpr57
	v_mul_u32_u24_e32 v3, 27, v3
	v_sub_nc_u32_e32 v41, v0, v3
	v_add_nc_u32_e32 v45, 27, v41
	v_add_nc_u32_e32 v44, 54, v41
	;; [unrolled: 1-line block ×4, first 2 shown]
	s_waitcnt lgkmcnt(0)
	v_cmp_gt_u64_e32 vcc_lo, s[4:5], v[7:8]
	v_mul_lo_u32 v3, s0, v8
	v_mul_lo_u32 v4, s1, v7
	v_mad_u64_u32 v[0:1], null, s0, v7, v[1:2]
	v_cmp_le_u64_e64 s0, s[4:5], v[7:8]
	v_add3_u32 v1, v4, v1, v3
	s_and_saveexec_b32 s1, s0
	s_xor_b32 s0, exec_lo, s1
; %bb.10:
	v_add_nc_u32_e32 v54, 27, v41
	v_add_nc_u32_e32 v55, 54, v41
	;; [unrolled: 1-line block ×4, first 2 shown]
; %bb.11:
	s_or_saveexec_b32 s1, s0
	v_lshlrev_b64 v[4:5], 3, v[0:1]
	v_add_nc_u32_e32 v52, 0x90, v41
	v_or_b32_e32 v53, 0x120, v41
	v_add_nc_u32_e32 v51, 0xab, v41
	v_add_nc_u32_e32 v50, 0x13b, v41
	;; [unrolled: 1-line block ×6, first 2 shown]
                                        ; implicit-def: $vgpr1
                                        ; implicit-def: $vgpr14
                                        ; implicit-def: $vgpr12
                                        ; implicit-def: $vgpr3
                                        ; implicit-def: $vgpr26
                                        ; implicit-def: $vgpr24
                                        ; implicit-def: $vgpr10
                                        ; implicit-def: $vgpr20
                                        ; implicit-def: $vgpr38
                                        ; implicit-def: $vgpr16
                                        ; implicit-def: $vgpr40
                                        ; implicit-def: $vgpr36
                                        ; implicit-def: $vgpr18
                                        ; implicit-def: $vgpr34
                                        ; implicit-def: $vgpr22
                                        ; implicit-def: $vgpr32
                                        ; implicit-def: $vgpr30
                                        ; implicit-def: $vgpr28
	s_xor_b32 exec_lo, exec_lo, s1
	s_cbranch_execz .LBB0_15
; %bb.12:
	v_mad_u64_u32 v[0:1], null, s2, v41, 0
	v_mad_u64_u32 v[2:3], null, s2, v52, 0
	;; [unrolled: 1-line block ×6, first 2 shown]
	v_mov_b32_e32 v1, v9
	v_mad_u64_u32 v[17:18], null, s2, v50, 0
	v_mov_b32_e32 v9, v11
	v_mad_u64_u32 v[11:12], null, s3, v52, v[3:4]
	v_mad_u64_u32 v[12:13], null, s3, v53, v[1:2]
	v_mov_b32_e32 v1, v6
	v_mad_u64_u32 v[13:14], null, s3, v45, v[9:10]
	v_add_co_u32 v6, s0, s12, v4
	v_mov_b32_e32 v3, v11
	v_lshlrev_b64 v[0:1], 3, v[0:1]
	v_mov_b32_e32 v9, v12
	v_add_co_ci_u32_e64 v7, s0, s13, v5, s0
	v_lshlrev_b64 v[2:3], 3, v[2:3]
	v_mov_b32_e32 v11, v13
	v_add_co_u32 v0, s0, v6, v0
	v_lshlrev_b64 v[8:9], 3, v[8:9]
	v_mov_b32_e32 v12, v16
	v_add_co_ci_u32_e64 v1, s0, v7, v1, s0
	v_add_co_u32 v2, s0, v6, v2
	v_lshlrev_b64 v[10:11], 3, v[10:11]
	v_add_co_ci_u32_e64 v3, s0, v7, v3, s0
	v_add_co_u32 v8, s0, v6, v8
	v_mad_u64_u32 v[12:13], null, s3, v51, v[12:13]
	v_add_co_ci_u32_e64 v9, s0, v7, v9, s0
	v_mad_u64_u32 v[19:20], null, s2, v44, 0
	v_add_co_u32 v21, s0, v6, v10
	v_mov_b32_e32 v10, v18
	v_mad_u64_u32 v[23:24], null, s2, v48, 0
	v_add_co_ci_u32_e64 v22, s0, v7, v11, s0
	v_mov_b32_e32 v16, v12
	v_mad_u64_u32 v[10:11], null, s3, v50, v[10:11]
	v_mov_b32_e32 v18, v20
	s_clause 0x3
	global_load_dwordx2 v[0:1], v[0:1], off
	global_load_dwordx2 v[13:14], v[2:3], off
	;; [unrolled: 1-line block ×4, first 2 shown]
	v_mov_b32_e32 v8, v24
	v_lshlrev_b64 v[15:16], 3, v[15:16]
	v_mad_u64_u32 v[27:28], null, s2, v42, 0
	v_mad_u64_u32 v[20:21], null, s3, v44, v[18:19]
	v_mov_b32_e32 v18, v10
	v_mad_u64_u32 v[8:9], null, s3, v48, v[8:9]
	v_add_co_u32 v9, s0, v6, v15
	v_add_co_ci_u32_e64 v10, s0, v7, v16, s0
	v_lshlrev_b64 v[15:16], 3, v[17:18]
	v_mad_u64_u32 v[17:18], null, s2, v49, 0
	v_mov_b32_e32 v24, v8
	v_lshlrev_b64 v[19:20], 3, v[19:20]
	v_mad_u64_u32 v[29:30], null, s2, v46, 0
	v_add_co_u32 v15, s0, v6, v15
	v_mov_b32_e32 v8, v18
	v_lshlrev_b64 v[21:22], 3, v[23:24]
	v_add_co_ci_u32_e64 v16, s0, v7, v16, s0
	v_add_co_u32 v19, s0, v6, v19
	v_mad_u64_u32 v[23:24], null, s3, v49, v[8:9]
	v_add_co_ci_u32_e64 v20, s0, v7, v20, s0
	v_mov_b32_e32 v8, v28
	v_add_co_u32 v21, s0, v6, v21
	v_add_co_ci_u32_e64 v22, s0, v7, v22, s0
	v_mad_u64_u32 v[31:32], null, s3, v42, v[8:9]
	v_mov_b32_e32 v18, v23
	s_clause 0x3
	global_load_dwordx2 v[25:26], v[9:10], off
	global_load_dwordx2 v[23:24], v[15:16], off
	;; [unrolled: 1-line block ×4, first 2 shown]
	v_mov_b32_e32 v8, v30
	v_add_nc_u32_e32 v38, 0xfc, v41
	v_add_nc_u32_e32 v39, 0x18c, v41
	v_lshlrev_b64 v[15:16], 3, v[17:18]
	v_mad_u64_u32 v[17:18], null, s2, v47, 0
	v_mov_b32_e32 v28, v31
	v_mad_u64_u32 v[31:32], null, s2, v43, 0
	v_mad_u64_u32 v[33:34], null, s2, v38, 0
	v_lshlrev_b64 v[27:28], 3, v[27:28]
	v_add_co_u32 v15, s0, v6, v15
	v_add_co_ci_u32_e64 v16, s0, v7, v16, s0
	s_mov_b32 s4, exec_lo
	v_add_co_u32 v27, s0, v6, v27
	v_add_co_ci_u32_e64 v28, s0, v7, v28, s0
	s_waitcnt vmcnt(1)
	v_mad_u64_u32 v[21:22], null, s3, v46, v[8:9]
	v_mov_b32_e32 v8, v18
	v_mov_b32_e32 v30, v21
	v_mad_u64_u32 v[21:22], null, s3, v47, v[8:9]
	v_mov_b32_e32 v8, v32
	v_lshlrev_b64 v[29:30], 3, v[29:30]
	v_mad_u64_u32 v[35:36], null, s3, v43, v[8:9]
	v_mad_u64_u32 v[36:37], null, s2, v39, 0
	v_mov_b32_e32 v8, v34
	v_mov_b32_e32 v18, v21
	v_add_co_u32 v29, s0, v6, v29
	v_mov_b32_e32 v32, v35
	v_mad_u64_u32 v[21:22], null, s3, v38, v[8:9]
	v_mov_b32_e32 v8, v37
	v_lshlrev_b64 v[17:18], 3, v[17:18]
	v_lshlrev_b64 v[31:32], 3, v[31:32]
	v_add_co_ci_u32_e64 v30, s0, v7, v30, s0
	v_mad_u64_u32 v[37:38], null, s3, v39, v[8:9]
	v_mov_b32_e32 v34, v21
	v_add_co_u32 v17, s0, v6, v17
	v_add_co_ci_u32_e64 v18, s0, v7, v18, s0
	v_lshlrev_b64 v[21:22], 3, v[33:34]
	v_add_co_u32 v31, s0, v6, v31
	v_lshlrev_b64 v[33:34], 3, v[36:37]
	v_add_co_ci_u32_e64 v32, s0, v7, v32, s0
	v_add_co_u32 v21, s0, v6, v21
	v_add_co_ci_u32_e64 v22, s0, v7, v22, s0
	v_add_co_u32 v54, s0, v6, v33
	v_add_co_ci_u32_e64 v55, s0, v7, v34, s0
	s_clause 0x6
	global_load_dwordx2 v[37:38], v[15:16], off
	global_load_dwordx2 v[15:16], v[27:28], off
	;; [unrolled: 1-line block ×7, first 2 shown]
                                        ; implicit-def: $vgpr27
                                        ; implicit-def: $vgpr29
                                        ; implicit-def: $vgpr31
	v_cmpx_gt_u32_e32 9, v41
	s_cbranch_execz .LBB0_14
; %bb.13:
	v_add_nc_u32_e32 v54, 0x87, v41
	v_add_nc_u32_e32 v56, 0x117, v41
	;; [unrolled: 1-line block ×3, first 2 shown]
	v_mad_u64_u32 v[27:28], null, s2, v54, 0
	v_mad_u64_u32 v[29:30], null, s2, v56, 0
	;; [unrolled: 1-line block ×3, first 2 shown]
	v_mov_b32_e32 v8, v28
	v_mov_b32_e32 v28, v30
	;; [unrolled: 1-line block ×3, first 2 shown]
	v_mad_u64_u32 v[54:55], null, s3, v54, v[8:9]
	v_mad_u64_u32 v[55:56], null, s3, v56, v[28:29]
	;; [unrolled: 1-line block ×3, first 2 shown]
	v_mov_b32_e32 v28, v54
	v_mov_b32_e32 v30, v55
	;; [unrolled: 1-line block ×3, first 2 shown]
	v_lshlrev_b64 v[27:28], 3, v[27:28]
	v_lshlrev_b64 v[29:30], 3, v[29:30]
	;; [unrolled: 1-line block ×3, first 2 shown]
	v_add_co_u32 v27, s0, v6, v27
	v_add_co_ci_u32_e64 v28, s0, v7, v28, s0
	v_add_co_u32 v29, s0, v6, v29
	v_add_co_ci_u32_e64 v30, s0, v7, v30, s0
	v_add_co_u32 v6, s0, v6, v31
	v_add_co_ci_u32_e64 v7, s0, v7, v32, s0
	s_clause 0x2
	global_load_dwordx2 v[27:28], v[27:28], off
	global_load_dwordx2 v[29:30], v[29:30], off
	;; [unrolled: 1-line block ×3, first 2 shown]
.LBB0_14:
	s_or_b32 exec_lo, exec_lo, s4
	v_mov_b32_e32 v57, v43
	v_mov_b32_e32 v56, v42
	;; [unrolled: 1-line block ×4, first 2 shown]
.LBB0_15:
	s_or_b32 exec_lo, exec_lo, s1
	v_add_f32_e32 v6, v13, v11
	v_add_f32_e32 v8, v0, v13
	v_and_b32_e32 v7, 1, v58
	v_sub_f32_e32 v58, v14, v12
	v_add_f32_e32 v59, v2, v25
	v_fmac_f32_e32 v0, -0.5, v6
	v_add_f32_e32 v6, v25, v23
	v_cmp_eq_u32_e64 s0, 1, v7
	v_add_f32_e32 v7, v8, v11
	s_waitcnt vmcnt(6)
	v_add_f32_e32 v8, v19, v37
	v_fmamk_f32 v60, v58, 0x3f5db3d7, v0
	v_fmac_f32_e32 v2, -0.5, v6
	v_sub_f32_e32 v6, v26, v24
	v_fmac_f32_e32 v0, 0xbf5db3d7, v58
	v_add_f32_e32 v63, v59, v23
	v_add_f32_e32 v58, v9, v19
	s_waitcnt vmcnt(3)
	v_add_f32_e32 v59, v39, v35
	v_fmamk_f32 v64, v6, 0x3f5db3d7, v2
	v_fmac_f32_e32 v2, 0xbf5db3d7, v6
	v_add_f32_e32 v6, v15, v39
	v_cndmask_b32_e64 v65, 0, 0x1b0, s0
	v_fmac_f32_e32 v9, -0.5, v8
	v_sub_f32_e32 v8, v20, v38
	v_add_f32_e32 v67, v58, v37
	v_fmac_f32_e32 v15, -0.5, v59
	v_sub_f32_e32 v58, v40, v36
	v_add_f32_e32 v69, v6, v35
	s_waitcnt vmcnt(1)
	v_add_f32_e32 v6, v17, v33
	v_fmamk_f32 v68, v8, 0x3f5db3d7, v9
	v_fmac_f32_e32 v9, 0xbf5db3d7, v8
	s_waitcnt vmcnt(0)
	v_add_f32_e32 v8, v33, v21
	v_fmamk_f32 v70, v58, 0x3f5db3d7, v15
	v_fmac_f32_e32 v15, 0xbf5db3d7, v58
	v_add_f32_e32 v71, v6, v21
	v_mad_u32_u24 v66, v41, 12, 0
	v_lshlrev_b32_e32 v58, 2, v65
	v_mad_i32_i24 v6, v54, 12, 0
	v_fmac_f32_e32 v17, -0.5, v8
	v_sub_f32_e32 v8, v34, v22
	v_add_f32_e32 v59, v31, v29
	v_add_nc_u32_e32 v61, v66, v58
	v_add_nc_u32_e32 v62, v6, v58
	v_sub_f32_e32 v73, v30, v32
	v_fmamk_f32 v72, v8, 0x3f5db3d7, v17
	v_fmac_f32_e32 v17, 0xbf5db3d7, v8
	v_fma_f32 v59, -0.5, v59, v27
	v_mad_i32_i24 v8, v55, 12, 0
	ds_write2_b32 v61, v7, v60 offset1:1
	ds_write_b32 v61, v0 offset:8
	ds_write2_b32 v62, v63, v64 offset1:1
	v_mad_i32_i24 v60, v56, 12, 0
	v_mad_i32_i24 v64, v57, 12, 0
	v_add_nc_u32_e32 v0, v8, v58
	ds_write_b32 v62, v2 offset:8
	v_fmamk_f32 v7, v73, 0x3f5db3d7, v59
	v_add_nc_u32_e32 v2, v60, v58
	v_fmac_f32_e32 v59, 0xbf5db3d7, v73
	v_add_nc_u32_e32 v63, v64, v58
	v_cmp_gt_u32_e64 s0, 9, v41
	ds_write2_b32 v0, v67, v68 offset1:1
	ds_write_b32 v0, v9 offset:8
	ds_write2_b32 v2, v69, v70 offset1:1
	ds_write_b32 v2, v15 offset:8
	;; [unrolled: 2-line block ×3, first 2 shown]
	s_and_saveexec_b32 s1, s0
	s_cbranch_execz .LBB0_17
; %bb.16:
	v_add_f32_e32 v9, v29, v27
	v_lshl_add_u32 v15, v65, 2, v66
	v_add_f32_e32 v9, v31, v9
	v_add_nc_u32_e32 v17, 0x654, v15
	ds_write2_b32 v17, v9, v7 offset1:1
	ds_write_b32 v15, v59 offset:1628
.LBB0_17:
	s_or_b32 exec_lo, exec_lo, s1
	v_add_f32_e32 v9, v14, v12
	v_add_f32_e32 v14, v1, v14
	v_sub_f32_e32 v11, v13, v11
	v_add_f32_e32 v13, v26, v24
	v_add_f32_e32 v73, v18, v34
	v_fmac_f32_e32 v1, -0.5, v9
	v_add_f32_e32 v9, v3, v26
	v_add_f32_e32 v65, v14, v12
	;; [unrolled: 1-line block ×3, first 2 shown]
	v_fmac_f32_e32 v3, -0.5, v13
	v_fmamk_f32 v66, v11, 0xbf5db3d7, v1
	v_fmac_f32_e32 v1, 0x3f5db3d7, v11
	v_add_f32_e32 v11, v10, v20
	v_add_f32_e32 v67, v9, v24
	;; [unrolled: 1-line block ×3, first 2 shown]
	v_lshlrev_b32_e32 v13, 3, v55
	v_lshlrev_b32_e32 v14, 3, v56
	v_add_f32_e32 v69, v11, v38
	v_add_f32_e32 v11, v16, v40
	v_fmac_f32_e32 v16, -0.5, v12
	v_sub_f32_e32 v12, v39, v35
	v_fmac_f32_e32 v10, -0.5, v9
	v_sub_f32_e32 v9, v19, v37
	v_add_f32_e32 v71, v11, v36
	v_add_f32_e32 v11, v32, v30
	v_fmamk_f32 v72, v12, 0xbf5db3d7, v16
	v_fmac_f32_e32 v16, 0x3f5db3d7, v12
	v_lshlrev_b32_e32 v12, 3, v54
	v_fmamk_f32 v70, v9, 0xbf5db3d7, v10
	v_fma_f32 v40, -0.5, v11, v28
	v_lshlrev_b32_e32 v11, 2, v41
	v_fmac_f32_e32 v10, 0x3f5db3d7, v9
	v_add_f32_e32 v9, v34, v22
	v_sub_nc_u32_e32 v6, v6, v12
	v_lshlrev_b32_e32 v12, 3, v57
	v_add3_u32 v34, 0, v58, v11
	v_add_nc_u32_e32 v11, 0, v11
	v_sub_nc_u32_e32 v8, v8, v13
	v_sub_f32_e32 v15, v25, v23
	v_sub_nc_u32_e32 v13, v60, v14
	v_add_nc_u32_e32 v36, v6, v58
	v_add_nc_u32_e32 v35, v11, v58
	v_sub_nc_u32_e32 v6, v64, v12
	v_add_nc_u32_e32 v37, v8, v58
	v_fmamk_f32 v68, v15, 0xbf5db3d7, v3
	v_fmac_f32_e32 v3, 0x3f5db3d7, v15
	v_add_nc_u32_e32 v17, 0x200, v35
	v_add_nc_u32_e32 v8, 0x400, v35
	v_fmac_f32_e32 v18, -0.5, v9
	v_sub_f32_e32 v9, v33, v21
	v_sub_f32_e32 v21, v29, v31
	s_waitcnt lgkmcnt(0)
	s_barrier
	buffer_gl0_inv
	v_add_nc_u32_e32 v38, v13, v58
	v_add_nc_u32_e32 v39, v6, v58
	ds_read2_b32 v[25:26], v35 offset0:135 offset1:162
	ds_read2_b32 v[11:12], v35 offset0:189 offset1:216
	ds_read2_b32 v[23:24], v17 offset0:115 offset1:142
	ds_read2_b32 v[19:20], v8 offset0:41 offset1:68
	ds_read2_b32 v[13:14], v8 offset0:95 offset1:122
	ds_read_b32 v6, v34
	ds_read_b32 v60, v36
	;; [unrolled: 1-line block ×5, first 2 shown]
	ds_read_b32 v15, v35 offset:1620
	v_fmamk_f32 v64, v9, 0xbf5db3d7, v18
	v_fmac_f32_e32 v18, 0x3f5db3d7, v9
	v_fmamk_f32 v9, v21, 0xbf5db3d7, v40
	v_fmac_f32_e32 v40, 0x3f5db3d7, v21
	v_add_nc_u32_e32 v33, 0x87, v41
	v_add_f32_e32 v22, v73, v22
	s_waitcnt lgkmcnt(0)
	s_barrier
	buffer_gl0_inv
	ds_write2_b32 v61, v65, v66 offset1:1
	ds_write_b32 v61, v1 offset:8
	ds_write2_b32 v62, v67, v68 offset1:1
	ds_write_b32 v62, v3 offset:8
	;; [unrolled: 2-line block ×5, first 2 shown]
	s_and_saveexec_b32 s1, s0
	s_cbranch_execz .LBB0_19
; %bb.18:
	v_add_f32_e32 v0, v30, v28
	v_mul_u32_u24_e32 v1, 12, v33
	v_add_f32_e32 v0, v32, v0
	v_add3_u32 v1, 0, v1, v58
	ds_write2_b32 v1, v0, v9 offset1:1
	ds_write_b32 v1, v40 offset:8
.LBB0_19:
	s_or_b32 exec_lo, exec_lo, s1
	v_and_b32_e32 v0, 0xff, v41
	v_mov_b32_e32 v1, 15
	s_waitcnt lgkmcnt(0)
	s_barrier
	buffer_gl0_inv
	v_mul_lo_u16 v0, 0xab, v0
	v_lshrrev_b16 v10, 9, v0
	v_mul_lo_u16 v0, v10, 3
	v_sub_nc_u16 v16, v41, v0
	v_mul_u32_u24_sdwa v0, v16, v1 dst_sel:DWORD dst_unused:UNUSED_PAD src0_sel:BYTE_0 src1_sel:DWORD
	v_lshlrev_b32_e32 v18, 3, v0
	s_clause 0x7
	global_load_dwordx4 v[62:65], v18, s[8:9] offset:32
	global_load_dwordx4 v[66:69], v18, s[8:9] offset:64
	global_load_dwordx4 v[70:73], v18, s[8:9]
	global_load_dwordx4 v[74:77], v18, s[8:9] offset:16
	global_load_dwordx4 v[0:3], v18, s[8:9] offset:48
	;; [unrolled: 1-line block ×4, first 2 shown]
	global_load_dwordx2 v[86:87], v18, s[8:9] offset:112
	v_mov_b32_e32 v18, 48
	ds_read2_b32 v[88:89], v35 offset0:135 offset1:162
	v_mul_u32_u24_sdwa v10, v10, v18 dst_sel:DWORD dst_unused:UNUSED_PAD src0_sel:WORD_0 src1_sel:DWORD
	ds_read2_b32 v[90:91], v17 offset0:115 offset1:142
	ds_read_b32 v30, v34
	ds_read_b32 v18, v36
	ds_read2_b32 v[21:22], v35 offset0:189 offset1:216
	v_or_b32_sdwa v10, v10, v16 dst_sel:DWORD dst_unused:UNUSED_PAD src0_sel:DWORD src1_sel:BYTE_0
	ds_read2_b32 v[92:93], v8 offset0:41 offset1:68
	ds_read_b32 v16, v37
	ds_read2_b32 v[94:95], v8 offset0:95 offset1:122
	ds_read_b32 v32, v38
	ds_read_b32 v61, v39
	ds_read_b32 v96, v35 offset:1620
	s_waitcnt vmcnt(0) lgkmcnt(0)
	s_barrier
	v_lshlrev_b32_e32 v10, 2, v10
	buffer_gl0_inv
	v_add3_u32 v28, 0, v10, v58
	v_mul_f32_e32 v10, v88, v63
	v_mul_f32_e32 v97, v25, v63
	;; [unrolled: 1-line block ×29, first 2 shown]
	v_fma_f32 v10, v25, v62, -v10
	v_fmac_f32_e32 v97, v88, v62
	v_fma_f32 v25, v26, v64, -v98
	v_fmac_f32_e32 v65, v89, v64
	v_fma_f32 v23, v23, v66, -v99
	v_fma_f32 v24, v24, v68, -v100
	v_fmac_f32_e32 v67, v90, v66
	v_fmac_f32_e32 v69, v91, v68
	v_fma_f32 v26, v60, v70, -v101
	v_fmac_f32_e32 v71, v18, v70
	v_fma_f32 v18, v31, v72, -v102
	;; [unrolled: 2-line block ×3, first 2 shown]
	v_fma_f32 v27, v27, v76, -v104
	v_fmac_f32_e32 v63, v61, v76
	v_fma_f32 v11, v11, v0, -v77
	v_fmac_f32_e32 v1, v21, v0
	v_fma_f32 v0, v12, v2, -v105
	v_fma_f32 v19, v19, v78, -v106
	;; [unrolled: 1-line block ×3, first 2 shown]
	v_fmac_f32_e32 v81, v93, v80
	v_fmac_f32_e32 v83, v94, v82
	v_fma_f32 v14, v14, v84, -v109
	v_fmac_f32_e32 v85, v95, v84
	v_fmac_f32_e32 v87, v96, v86
	;; [unrolled: 1-line block ×4, first 2 shown]
	v_fma_f32 v13, v13, v82, -v108
	v_fma_f32 v15, v15, v86, -v110
	v_sub_f32_e32 v0, v6, v0
	v_sub_f32_e32 v29, v27, v20
	v_sub_f32_e32 v31, v63, v81
	v_sub_f32_e32 v20, v18, v24
	v_sub_f32_e32 v21, v73, v69
	v_sub_f32_e32 v14, v25, v14
	v_sub_f32_e32 v24, v65, v85
	v_sub_f32_e32 v23, v26, v23
	v_sub_f32_e32 v32, v71, v67
	v_sub_f32_e32 v60, v97, v83
	v_sub_f32_e32 v19, v16, v19
	v_sub_f32_e32 v62, v1, v87
	v_sub_f32_e32 v13, v10, v13
	v_sub_f32_e32 v61, v75, v79
	v_sub_f32_e32 v15, v11, v15
	v_fma_f32 v18, v18, 2.0, -v20
	v_fma_f32 v67, v73, 2.0, -v21
	;; [unrolled: 1-line block ×6, first 2 shown]
	v_sub_f32_e32 v71, v0, v31
	v_sub_f32_e32 v72, v20, v24
	v_add_f32_e32 v73, v21, v14
	v_sub_f32_e32 v14, v23, v60
	v_sub_f32_e32 v60, v19, v62
	v_fma_f32 v6, v6, 2.0, -v0
	v_fma_f32 v27, v27, 2.0, -v29
	;; [unrolled: 1-line block ×8, first 2 shown]
	v_add_f32_e32 v13, v32, v13
	v_add_f32_e32 v15, v61, v15
	v_fma_f32 v0, v0, 2.0, -v71
	v_sub_f32_e32 v24, v18, v25
	v_sub_f32_e32 v68, v67, v64
	v_fma_f32 v74, v20, 2.0, -v72
	v_sub_f32_e32 v25, v65, v66
	v_fma_f32 v62, v23, 2.0, -v14
	v_fma_f32 v64, v19, 2.0, -v60
	v_sub_f32_e32 v27, v6, v27
	v_sub_f32_e32 v10, v26, v10
	;; [unrolled: 1-line block ×4, first 2 shown]
	v_fmamk_f32 v76, v72, 0x3f3504f3, v71
	v_fmamk_f32 v19, v60, 0x3f3504f3, v14
	v_fma_f32 v75, v21, 2.0, -v73
	v_fma_f32 v32, v32, 2.0, -v13
	;; [unrolled: 1-line block ×4, first 2 shown]
	v_fmamk_f32 v65, v74, 0xbf3504f3, v0
	v_fmamk_f32 v20, v64, 0xbf3504f3, v62
	;; [unrolled: 1-line block ×3, first 2 shown]
	v_fma_f32 v66, v6, 2.0, -v27
	v_fma_f32 v6, v18, 2.0, -v24
	;; [unrolled: 1-line block ×5, first 2 shown]
	v_sub_f32_e32 v77, v27, v68
	v_fmac_f32_e32 v76, 0xbf3504f3, v73
	v_sub_f32_e32 v78, v10, v1
	v_fmac_f32_e32 v19, 0xbf3504f3, v15
	v_fmamk_f32 v23, v61, 0xbf3504f3, v32
	v_add_f32_e32 v79, v25, v11
	v_fmac_f32_e32 v65, 0xbf3504f3, v75
	v_fmac_f32_e32 v20, 0xbf3504f3, v61
	;; [unrolled: 1-line block ×3, first 2 shown]
	v_sub_f32_e32 v1, v66, v6
	v_fma_f32 v11, v27, 2.0, -v77
	v_fma_f32 v15, v71, 2.0, -v76
	v_sub_f32_e32 v27, v18, v16
	v_sub_f32_e32 v70, v69, v26
	v_fma_f32 v71, v10, 2.0, -v78
	v_fma_f32 v26, v14, 2.0, -v19
	v_fmac_f32_e32 v23, 0x3f3504f3, v64
	v_fma_f32 v80, v25, 2.0, -v79
	v_fma_f32 v0, v0, 2.0, -v65
	;; [unrolled: 1-line block ×3, first 2 shown]
	v_fmamk_f32 v10, v78, 0x3f3504f3, v77
	v_fmamk_f32 v6, v19, 0x3f6c835e, v76
	v_fma_f32 v64, v13, 2.0, -v21
	v_fma_f32 v13, v66, 2.0, -v1
	;; [unrolled: 1-line block ×3, first 2 shown]
	v_fmamk_f32 v16, v71, 0xbf3504f3, v11
	v_fmamk_f32 v18, v26, 0xbec3ef15, v15
	;; [unrolled: 1-line block ×3, first 2 shown]
	v_fma_f32 v66, v32, 2.0, -v23
	v_fmamk_f32 v61, v25, 0xbf6c835e, v0
	v_fmac_f32_e32 v10, 0xbf3504f3, v79
	v_fmac_f32_e32 v6, 0xbec3ef15, v21
	v_sub_f32_e32 v14, v13, v14
	v_fmac_f32_e32 v16, 0xbf3504f3, v80
	v_fmac_f32_e32 v18, 0xbf6c835e, v64
	v_sub_f32_e32 v32, v1, v70
	v_fmac_f32_e32 v60, 0xbf6c835e, v23
	v_fmac_f32_e32 v61, 0xbec3ef15, v66
	v_fma_f32 v62, v77, 2.0, -v10
	v_fma_f32 v76, v76, 2.0, -v6
	ds_write2_b32 v28, v10, v6 offset0:42 offset1:45
	v_fma_f32 v10, v13, 2.0, -v14
	v_fma_f32 v11, v11, 2.0, -v16
	;; [unrolled: 1-line block ×6, first 2 shown]
	ds_write2_b32 v28, v62, v76 offset0:18 offset1:21
	ds_write2_b32 v28, v16, v18 offset0:30 offset1:33
	;; [unrolled: 1-line block ×6, first 2 shown]
	ds_write2_b32 v28, v10, v0 offset1:3
	s_waitcnt lgkmcnt(0)
	s_barrier
	buffer_gl0_inv
	ds_read2_b32 v[15:16], v35 offset0:144 offset1:171
	ds_read2_b32 v[0:1], v17 offset0:124 offset1:160
	;; [unrolled: 1-line block ×5, first 2 shown]
	ds_read_b32 v65, v34
	ds_read_b32 v62, v36
	;; [unrolled: 1-line block ×5, first 2 shown]
	v_mul_f32_e32 v8, 0x3f3504f3, v74
	v_mul_f32_e32 v76, 0x3f3504f3, v75
	;; [unrolled: 1-line block ×8, first 2 shown]
	s_and_saveexec_b32 s1, s0
	s_cbranch_execz .LBB0_21
; %bb.20:
	v_add_nc_u32_e32 v6, 0x200, v35
	ds_read2_b32 v[6:7], v6 offset0:7 offset1:151
	ds_read_b32 v59, v35 offset:1692
.LBB0_21:
	s_or_b32 exec_lo, exec_lo, s1
	v_mul_f32_e32 v3, v12, v3
	s_waitcnt lgkmcnt(0)
	s_barrier
	buffer_gl0_inv
	v_fmac_f32_e32 v3, v22, v2
	v_sub_f32_e32 v2, v30, v3
	v_fma_f32 v3, v63, 2.0, -v31
	v_fma_f32 v12, v30, 2.0, -v2
	v_add_f32_e32 v22, v2, v29
	v_fma_f32 v29, v67, 2.0, -v68
	v_fma_f32 v30, v69, 2.0, -v70
	v_sub_f32_e32 v3, v12, v3
	v_fma_f32 v2, v2, 2.0, -v22
	v_add_f32_e32 v31, v22, v77
	v_fma_f32 v63, v12, 2.0, -v3
	v_sub_f32_e32 v67, v2, v76
	v_add_f32_e32 v24, v3, v24
	v_add_f32_e32 v31, v75, v31
	v_add_nc_u32_e32 v12, 0x200, v35
	v_sub_f32_e32 v29, v63, v29
	v_add_f32_e32 v67, v8, v67
	v_fma_f32 v3, v3, 2.0, -v24
	v_fma_f32 v22, v22, 2.0, -v31
	v_fmamk_f32 v8, v21, 0x3f6c835e, v31
	v_fma_f32 v21, v63, 2.0, -v29
	v_fma_f32 v2, v2, 2.0, -v67
	v_add_f32_e32 v68, v24, v74
	v_sub_f32_e32 v63, v3, v73
	v_fmamk_f32 v64, v64, 0xbec3ef15, v22
	v_fmamk_f32 v23, v23, 0x3ec3ef15, v67
	v_fmac_f32_e32 v8, 0x3ec3ef15, v19
	v_sub_f32_e32 v19, v21, v30
	v_fmamk_f32 v30, v66, 0xbf6c835e, v2
	v_add_f32_e32 v68, v72, v68
	v_add_f32_e32 v63, v71, v63
	v_fmac_f32_e32 v64, 0x3f6c835e, v26
	v_add_f32_e32 v27, v29, v27
	v_fmac_f32_e32 v23, 0x3f6c835e, v20
	v_fmac_f32_e32 v30, 0x3ec3ef15, v25
	v_fma_f32 v20, v24, 2.0, -v68
	v_fma_f32 v24, v31, 2.0, -v8
	v_fma_f32 v3, v3, 2.0, -v63
	v_fma_f32 v22, v22, 2.0, -v64
	v_fma_f32 v26, v29, 2.0, -v27
	v_fma_f32 v25, v67, 2.0, -v23
	v_fma_f32 v21, v21, 2.0, -v19
	v_fma_f32 v2, v2, 2.0, -v30
	ds_write2_b32 v28, v68, v8 offset0:42 offset1:45
	ds_write2_b32 v28, v20, v24 offset0:18 offset1:21
	;; [unrolled: 1-line block ×7, first 2 shown]
	ds_write2_b32 v28, v21, v2 offset1:3
	v_add_nc_u32_e32 v19, 0x400, v35
	s_waitcnt lgkmcnt(0)
	s_barrier
	buffer_gl0_inv
	ds_read2_b32 v[25:26], v35 offset0:144 offset1:171
	ds_read2_b32 v[2:3], v12 offset0:124 offset1:160
	;; [unrolled: 1-line block ×5, first 2 shown]
	ds_read_b32 v64, v34
	ds_read_b32 v63, v36
	;; [unrolled: 1-line block ×5, first 2 shown]
	s_and_saveexec_b32 s1, s0
	s_cbranch_execz .LBB0_23
; %bb.22:
	ds_read2_b32 v[8:9], v12 offset0:7 offset1:151
	ds_read_b32 v40, v35 offset:1692
.LBB0_23:
	s_or_b32 exec_lo, exec_lo, s1
	v_subrev_nc_u32_e32 v12, 21, v41
	v_cmp_gt_u32_e64 s1, 21, v41
	v_lshlrev_b32_e32 v66, 1, v41
	v_mov_b32_e32 v67, 0
	v_and_b32_e32 v70, 0xff, v56
	v_and_b32_e32 v74, 0xff, v57
	v_cndmask_b32_e64 v12, v12, v54, s1
	v_and_b32_e32 v76, 0xff, v33
	v_lshlrev_b64 v[19:20], 3, v[66:67]
	v_add_nc_u32_e32 v66, 12, v66
	v_mov_b32_e32 v69, v67
	v_lshlrev_b32_e32 v68, 1, v12
	v_mul_lo_u16 v75, 0xab, v70
	v_mul_lo_u16 v74, 0xab, v74
	v_lshlrev_b64 v[66:67], 3, v[66:67]
	v_add_co_u32 v19, s1, s8, v19
	v_lshlrev_b64 v[68:69], 3, v[68:69]
	v_add_co_ci_u32_e64 v20, s1, s9, v20, s1
	v_add_co_u32 v66, s1, s8, v66
	v_add_co_ci_u32_e64 v67, s1, s9, v67, s1
	v_add_co_u32 v68, s1, s8, v68
	v_lshrrev_b16 v75, 13, v75
	v_mul_lo_u16 v76, 0xab, v76
	v_add_co_ci_u32_e64 v69, s1, s9, v69, s1
	v_lshrrev_b16 v74, 13, v74
	global_load_dwordx4 v[70:73], v[19:20], off offset:360
	v_mul_lo_u16 v77, v75, 48
	s_clause 0x1
	global_load_dwordx4 v[82:85], v[66:67], off offset:360
	global_load_dwordx4 v[86:89], v[68:69], off offset:360
	v_lshrrev_b16 v66, 13, v76
	v_mul_lo_u16 v67, v74, 48
	v_mov_b32_e32 v69, 4
	v_sub_nc_u16 v68, v56, v77
	v_cmp_lt_u32_e64 s1, 20, v41
	v_mul_lo_u16 v66, v66, 48
	v_sub_nc_u16 v74, v57, v67
	v_and_b32_e32 v75, 0xffff, v75
	v_lshlrev_b32_sdwa v67, v69, v68 dst_sel:DWORD dst_unused:UNUSED_PAD src0_sel:DWORD src1_sel:BYTE_0
	v_sub_nc_u16 v66, v33, v66
	v_lshlrev_b32_sdwa v76, v69, v74 dst_sel:DWORD dst_unused:UNUSED_PAD src0_sel:DWORD src1_sel:BYTE_0
	global_load_dwordx4 v[90:93], v67, s[8:9] offset:360
	v_lshlrev_b32_sdwa v67, v69, v66 dst_sel:DWORD dst_unused:UNUSED_PAD src0_sel:DWORD src1_sel:BYTE_0
	s_clause 0x1
	global_load_dwordx4 v[94:97], v76, s[8:9] offset:360
	global_load_dwordx4 v[98:101], v67, s[8:9] offset:360
	v_cndmask_b32_e64 v67, 0, 0x240, s1
	v_lshlrev_b32_e32 v69, 2, v12
	v_mov_b32_e32 v12, 2
	s_waitcnt vmcnt(0) lgkmcnt(0)
	s_barrier
	v_add_nc_u32_e32 v67, 0, v67
	buffer_gl0_inv
	v_lshlrev_b32_sdwa v68, v12, v68 dst_sel:DWORD dst_unused:UNUSED_PAD src0_sel:DWORD src1_sel:BYTE_0
	v_lshlrev_b32_sdwa v74, v12, v74 dst_sel:DWORD dst_unused:UNUSED_PAD src0_sel:DWORD src1_sel:BYTE_0
	v_add3_u32 v67, v67, v69, v58
	v_mad_u32_u24 v69, 0x240, v75, 0
	v_add3_u32 v69, v69, v68, v58
	v_add3_u32 v68, 0, v74, v58
	v_add_nc_u32_e32 v102, 0x400, v68
	v_mul_f32_e32 v74, v25, v71
	v_mul_f32_e32 v78, v15, v71
	;; [unrolled: 1-line block ×5, first 2 shown]
	v_fma_f32 v79, v15, v70, -v74
	v_fmac_f32_e32 v78, v25, v70
	v_fmac_f32_e32 v76, v3, v72
	v_mul_f32_e32 v74, v13, v83
	v_mul_f32_e32 v3, v28, v85
	;; [unrolled: 1-line block ×3, first 2 shown]
	v_fma_f32 v81, v1, v72, -v71
	v_mul_f32_e32 v1, v23, v83
	v_mul_f32_e32 v15, v26, v87
	;; [unrolled: 1-line block ×3, first 2 shown]
	v_fmac_f32_e32 v74, v23, v82
	v_fma_f32 v72, v18, v84, -v3
	v_fmac_f32_e32 v70, v28, v84
	v_mul_f32_e32 v84, v24, v91
	v_mul_f32_e32 v75, v14, v91
	;; [unrolled: 1-line block ×9, first 2 shown]
	v_fma_f32 v71, v13, v82, -v1
	v_add_f32_e32 v13, v79, v81
	v_mul_f32_e32 v87, v2, v95
	v_mul_f32_e32 v89, v22, v97
	;; [unrolled: 1-line block ×4, first 2 shown]
	v_fma_f32 v82, v16, v86, -v15
	v_fma_f32 v83, v17, v88, -v83
	v_fmac_f32_e32 v23, v2, v94
	v_fmac_f32_e32 v3, v22, v96
	v_fma_f32 v2, v7, v98, -v91
	v_fma_f32 v22, v59, v100, -v93
	v_fmac_f32_e32 v80, v26, v86
	v_fmac_f32_e32 v77, v27, v88
	v_fma_f32 v26, v14, v90, -v84
	v_fma_f32 v27, v10, v92, -v85
	v_add_f32_e32 v1, v65, v79
	v_sub_f32_e32 v18, v78, v76
	v_fmac_f32_e32 v65, -0.5, v13
	v_add_f32_e32 v15, v71, v72
	v_fmac_f32_e32 v75, v24, v90
	v_fmac_f32_e32 v73, v21, v92
	v_fma_f32 v21, v0, v94, -v87
	v_fma_f32 v24, v11, v96, -v89
	v_fmac_f32_e32 v28, v9, v98
	v_fmac_f32_e32 v25, v40, v100
	v_add_f32_e32 v9, v82, v83
	v_add_f32_e32 v84, v2, v22
	;; [unrolled: 1-line block ×5, first 2 shown]
	v_sub_f32_e32 v16, v74, v70
	v_fmamk_f32 v0, v18, 0x3f5db3d7, v65
	v_fmac_f32_e32 v65, 0xbf5db3d7, v18
	v_add_f32_e32 v7, v62, v82
	v_sub_f32_e32 v10, v80, v77
	v_fmac_f32_e32 v61, -0.5, v15
	v_add_f32_e32 v18, v21, v24
	v_add_f32_e32 v59, v6, v2
	v_sub_f32_e32 v85, v28, v25
	v_fmac_f32_e32 v62, -0.5, v9
	v_fmac_f32_e32 v6, -0.5, v84
	v_add_f32_e32 v11, v13, v72
	v_add_f32_e32 v13, v60, v26
	v_sub_f32_e32 v15, v75, v73
	v_fmac_f32_e32 v60, -0.5, v14
	v_add_f32_e32 v17, v32, v21
	v_sub_f32_e32 v40, v23, v3
	v_add_f32_e32 v7, v7, v83
	v_fmamk_f32 v9, v16, 0x3f5db3d7, v61
	v_fmac_f32_e32 v61, 0xbf5db3d7, v16
	ds_write2_b32 v35, v1, v0 offset1:48
	ds_write_b32 v35, v65 offset:384
	v_fmac_f32_e32 v32, -0.5, v18
	v_add_f32_e32 v0, v59, v22
	v_fmamk_f32 v16, v10, 0x3f5db3d7, v62
	v_fmamk_f32 v1, v85, 0x3f5db3d7, v6
	v_fmac_f32_e32 v6, 0xbf5db3d7, v85
	v_fmac_f32_e32 v62, 0xbf5db3d7, v10
	v_add_f32_e32 v13, v13, v27
	v_fmamk_f32 v10, v15, 0x3f5db3d7, v60
	v_add_f32_e32 v14, v17, v24
	v_fmac_f32_e32 v60, 0xbf5db3d7, v15
	v_fmamk_f32 v15, v40, 0x3f5db3d7, v32
	v_fmac_f32_e32 v32, 0xbf5db3d7, v40
	ds_write2_b32 v67, v7, v16 offset1:48
	ds_write_b32 v67, v62 offset:384
	ds_write2_b32 v35, v11, v9 offset0:150 offset1:198
	ds_write_b32 v35, v61 offset:984
	ds_write2_b32 v69, v13, v10 offset1:48
	ds_write_b32 v69, v60 offset:384
	ds_write2_b32 v102, v14, v15 offset0:32 offset1:80
	ds_write_b32 v68, v32 offset:1536
	s_and_saveexec_b32 s1, s0
	s_cbranch_execz .LBB0_25
; %bb.24:
	v_lshlrev_b32_sdwa v7, v12, v66 dst_sel:DWORD dst_unused:UNUSED_PAD src0_sel:DWORD src1_sel:BYTE_0
	v_add3_u32 v7, 0, v7, v58
	v_add_nc_u32_e32 v9, 0x400, v7
	ds_write2_b32 v9, v0, v1 offset0:32 offset1:80
	ds_write_b32 v7, v6 offset:1536
.LBB0_25:
	s_or_b32 exec_lo, exec_lo, s1
	v_add_nc_u32_e32 v65, 0x200, v35
	v_add_nc_u32_e32 v7, 0x400, v35
	s_waitcnt lgkmcnt(0)
	s_barrier
	buffer_gl0_inv
	ds_read2_b32 v[9:10], v35 offset0:144 offset1:171
	ds_read2_b32 v[17:18], v65 offset0:124 offset1:160
	;; [unrolled: 1-line block ×5, first 2 shown]
	ds_read_b32 v60, v34
	ds_read_b32 v7, v36
	;; [unrolled: 1-line block ×5, first 2 shown]
	v_add_nc_u32_e32 v32, 24, v35
	v_add_nc_u32_e32 v62, 0x300, v35
	s_and_saveexec_b32 s1, s0
	s_cbranch_execz .LBB0_27
; %bb.26:
	ds_read2_b32 v[0:1], v65 offset0:7 offset1:151
	ds_read_b32 v6, v35 offset:1692
.LBB0_27:
	s_or_b32 exec_lo, exec_lo, s1
	v_add_f32_e32 v65, v78, v76
	v_sub_f32_e32 v79, v79, v81
	v_add_f32_e32 v81, v80, v77
	v_add_f32_e32 v78, v64, v78
	v_sub_f32_e32 v71, v71, v72
	v_fmac_f32_e32 v64, -0.5, v65
	v_add_f32_e32 v65, v63, v80
	v_sub_f32_e32 v80, v82, v83
	v_fmac_f32_e32 v63, -0.5, v81
	v_add_f32_e32 v76, v78, v76
	v_fmamk_f32 v78, v79, 0xbf5db3d7, v64
	v_fmac_f32_e32 v64, 0x3f5db3d7, v79
	v_add_f32_e32 v65, v65, v77
	v_add_f32_e32 v77, v74, v70
	v_fmamk_f32 v79, v80, 0xbf5db3d7, v63
	v_fmac_f32_e32 v63, 0x3f5db3d7, v80
	v_add_f32_e32 v80, v75, v73
	v_add_f32_e32 v74, v31, v74
	v_fmac_f32_e32 v31, -0.5, v77
	v_add_f32_e32 v72, v30, v75
	v_sub_f32_e32 v26, v26, v27
	v_fmac_f32_e32 v30, -0.5, v80
	v_sub_f32_e32 v21, v21, v24
	v_fmamk_f32 v27, v71, 0xbf5db3d7, v31
	v_fmac_f32_e32 v31, 0x3f5db3d7, v71
	v_add_f32_e32 v71, v72, v73
	v_fmamk_f32 v73, v26, 0xbf5db3d7, v30
	v_fmac_f32_e32 v30, 0x3f5db3d7, v26
	v_add_f32_e32 v26, v28, v25
	v_add_f32_e32 v72, v23, v3
	;; [unrolled: 1-line block ×4, first 2 shown]
	v_sub_f32_e32 v22, v2, v22
	v_fmac_f32_e32 v8, -0.5, v26
	v_fmac_f32_e32 v29, -0.5, v72
	v_add_f32_e32 v23, v23, v3
	v_add_f32_e32 v2, v24, v25
	;; [unrolled: 1-line block ×3, first 2 shown]
	v_fmamk_f32 v3, v22, 0xbf5db3d7, v8
	v_fmac_f32_e32 v8, 0x3f5db3d7, v22
	v_fmamk_f32 v26, v21, 0xbf5db3d7, v29
	v_fmac_f32_e32 v29, 0x3f5db3d7, v21
	v_add_nc_u32_e32 v21, 0x400, v68
	s_waitcnt lgkmcnt(0)
	s_barrier
	buffer_gl0_inv
	ds_write2_b32 v35, v76, v78 offset1:48
	ds_write_b32 v35, v64 offset:384
	ds_write2_b32 v67, v65, v79 offset1:48
	ds_write_b32 v67, v63 offset:384
	ds_write_b32 v62, v27 offset:24
	ds_write2_b32 v32, v70, v31 offset0:144 offset1:240
	ds_write2_b32 v69, v71, v73 offset1:48
	ds_write_b32 v69, v30 offset:384
	ds_write2_b32 v21, v23, v26 offset0:32 offset1:80
	ds_write_b32 v68, v29 offset:1536
	s_and_saveexec_b32 s1, s0
	s_cbranch_execz .LBB0_29
; %bb.28:
	v_mov_b32_e32 v21, 2
	v_lshlrev_b32_sdwa v21, v21, v66 dst_sel:DWORD dst_unused:UNUSED_PAD src0_sel:DWORD src1_sel:BYTE_0
	v_add3_u32 v21, 0, v21, v58
	v_add_nc_u32_e32 v22, 0x400, v21
	ds_write2_b32 v22, v2, v3 offset0:32 offset1:80
	ds_write_b32 v21, v8 offset:1536
.LBB0_29:
	s_or_b32 exec_lo, exec_lo, s1
	v_add_nc_u32_e32 v21, 0x200, v35
	v_add_nc_u32_e32 v22, 0x400, v35
	s_waitcnt lgkmcnt(0)
	s_barrier
	buffer_gl0_inv
	ds_read2_b32 v[23:24], v35 offset0:144 offset1:171
	ds_read2_b32 v[31:32], v21 offset0:124 offset1:160
	;; [unrolled: 1-line block ×5, first 2 shown]
	ds_read_b32 v58, v34
	ds_read_b32 v34, v36
	;; [unrolled: 1-line block ×5, first 2 shown]
	s_and_saveexec_b32 s1, s0
	s_cbranch_execz .LBB0_31
; %bb.30:
	ds_read2_b32 v[2:3], v21 offset0:7 offset1:151
	ds_read_b32 v8, v35 offset:1692
.LBB0_31:
	s_or_b32 exec_lo, exec_lo, s1
	s_and_saveexec_b32 s1, vcc_lo
	s_cbranch_execz .LBB0_34
; %bb.32:
	v_lshlrev_b32_e32 v21, 1, v57
	v_mov_b32_e32 v22, 0
	v_mad_u64_u32 v[78:79], null, s2, v52, 0
	v_mad_u64_u32 v[82:83], null, s2, v45, 0
	v_lshlrev_b64 v[62:63], 3, v[21:22]
	v_lshlrev_b32_e32 v21, 1, v56
	v_mad_u64_u32 v[84:85], null, s2, v51, 0
	v_mad_u64_u32 v[88:89], null, s2, v44, 0
	v_add_co_u32 v56, vcc_lo, s8, v62
	v_lshlrev_b64 v[70:71], 3, v[21:22]
	v_add_co_ci_u32_e32 v57, vcc_lo, s9, v63, vcc_lo
	v_lshlrev_b32_e32 v21, 1, v55
	s_clause 0x1
	global_load_dwordx4 v[62:65], v[56:57], off offset:1128
	global_load_dwordx4 v[66:69], v[19:20], off offset:1128
	v_add_co_u32 v19, vcc_lo, s8, v70
	v_add_co_ci_u32_e32 v20, vcc_lo, s9, v71, vcc_lo
	v_mad_u64_u32 v[90:91], null, s2, v48, 0
	v_mad_u64_u32 v[92:93], null, s2, v49, 0
	global_load_dwordx4 v[70:73], v[19:20], off offset:1128
	v_lshlrev_b64 v[19:20], 3, v[21:22]
	v_lshlrev_b32_e32 v21, 1, v54
	v_mad_u64_u32 v[80:81], null, s2, v53, 0
	v_mad_u64_u32 v[86:87], null, s2, v50, 0
	v_add_co_u32 v19, vcc_lo, s8, v19
	v_add_co_ci_u32_e32 v20, vcc_lo, s9, v20, vcc_lo
	v_mad_u64_u32 v[98:99], null, s2, v47, 0
	v_mad_u64_u32 v[94:95], null, s2, v42, 0
	global_load_dwordx4 v[74:77], v[19:20], off offset:1128
	v_lshlrev_b64 v[19:20], 3, v[21:22]
	v_mov_b32_e32 v21, v79
	v_mul_hi_u32 v105, 0x38e38e39, v43
	v_mov_b32_e32 v39, v83
	v_mov_b32_e32 v79, v85
	v_mad_u64_u32 v[96:97], null, s2, v46, 0
	v_add_co_u32 v19, vcc_lo, s8, v19
	v_add_co_ci_u32_e32 v20, vcc_lo, s9, v20, vcc_lo
	v_mov_b32_e32 v83, v89
	v_mov_b32_e32 v85, v91
	v_mad_u64_u32 v[100:101], null, s3, v52, v[21:22]
	global_load_dwordx4 v[54:57], v[19:20], off offset:1128
	v_mov_b32_e32 v21, v93
	v_mov_b32_e32 v35, v81
	v_mad_u64_u32 v[19:20], null, s2, v41, 0
	v_mad_u64_u32 v[101:102], null, s3, v45, v[39:40]
	;; [unrolled: 1-line block ×6, first 2 shown]
	v_mov_b32_e32 v21, v99
	s_waitcnt lgkmcnt(2)
	v_mad_u64_u32 v[52:53], null, s3, v53, v[35:36]
	v_mov_b32_e32 v35, v95
	v_lshrrev_b32_e32 v45, 5, v105
	v_mov_b32_e32 v39, v97
	v_mad_u64_u32 v[104:105], null, s3, v41, v[20:21]
	v_mad_u64_u32 v[105:106], null, s3, v42, v[35:36]
	v_mad_u32_u24 v35, 0x120, v45, v43
	v_mad_u64_u32 v[42:43], null, s3, v46, v[39:40]
	v_mad_u64_u32 v[45:46], null, s3, v47, v[21:22]
	v_mov_b32_e32 v81, v87
	v_mad_u64_u32 v[46:47], null, s2, v35, 0
	v_add_nc_u32_e32 v39, 0x90, v35
	v_mov_b32_e32 v20, v104
	v_add_nc_u32_e32 v106, 0x120, v35
	v_mad_u64_u32 v[50:51], null, s3, v50, v[81:82]
	v_mov_b32_e32 v79, v100
	v_mov_b32_e32 v97, v42
	v_mad_u64_u32 v[42:43], null, s2, v39, 0
	v_lshlrev_b64 v[19:20], 3, v[19:20]
	v_add_co_u32 v4, vcc_lo, s12, v4
	v_mov_b32_e32 v81, v52
	v_mov_b32_e32 v83, v101
	v_mov_b32_e32 v89, v44
	v_mov_b32_e32 v95, v105
	v_mov_b32_e32 v21, v47
	v_mov_b32_e32 v99, v45
	v_mad_u64_u32 v[44:45], null, s2, v106, 0
	v_add_co_ci_u32_e32 v5, vcc_lo, s13, v5, vcc_lo
	v_mov_b32_e32 v93, v48
	v_lshlrev_b64 v[48:49], 3, v[78:79]
	v_mov_b32_e32 v85, v102
	v_mov_b32_e32 v87, v50
	;; [unrolled: 1-line block ×3, first 2 shown]
	v_lshlrev_b64 v[50:51], 3, v[80:81]
	v_lshlrev_b64 v[52:53], 3, v[82:83]
	;; [unrolled: 1-line block ×4, first 2 shown]
	v_mad_u64_u32 v[94:95], null, s3, v35, v[21:22]
	v_mov_b32_e32 v21, v43
	v_add_co_u32 v19, vcc_lo, v4, v19
	v_add_co_ci_u32_e32 v20, vcc_lo, v5, v20, vcc_lo
	v_add_co_u32 v48, vcc_lo, v4, v48
	v_mov_b32_e32 v35, v45
	v_lshlrev_b64 v[78:79], 3, v[84:85]
	v_lshlrev_b64 v[84:85], 3, v[90:91]
	;; [unrolled: 1-line block ×3, first 2 shown]
	v_add_co_ci_u32_e32 v49, vcc_lo, v5, v49, vcc_lo
	v_mad_u64_u32 v[95:96], null, s3, v39, v[21:22]
	v_add_co_u32 v50, vcc_lo, v4, v50
	v_add_co_ci_u32_e32 v51, vcc_lo, v5, v51, vcc_lo
	v_lshlrev_b64 v[80:81], 3, v[86:87]
	v_add_co_u32 v52, vcc_lo, v4, v52
	v_mad_u64_u32 v[96:97], null, s3, v106, v[35:36]
	v_mov_b32_e32 v47, v94
	v_add_co_ci_u32_e32 v53, vcc_lo, v5, v53, vcc_lo
	v_add_co_u32 v78, vcc_lo, v4, v78
	v_add_co_ci_u32_e32 v79, vcc_lo, v5, v79, vcc_lo
	v_add_co_u32 v80, vcc_lo, v4, v80
	v_add_co_ci_u32_e32 v81, vcc_lo, v5, v81, vcc_lo
	v_lshlrev_b64 v[86:87], 3, v[92:93]
	v_add_co_u32 v82, vcc_lo, v4, v82
	v_add_co_ci_u32_e32 v83, vcc_lo, v5, v83, vcc_lo
	v_add_co_u32 v84, vcc_lo, v4, v84
	v_add_co_ci_u32_e32 v85, vcc_lo, v5, v85, vcc_lo
	;; [unrolled: 2-line block ×3, first 2 shown]
	v_lshlrev_b64 v[92:93], 3, v[98:99]
	v_add_co_u32 v88, vcc_lo, v4, v88
	v_mov_b32_e32 v43, v95
	v_add_co_ci_u32_e32 v89, vcc_lo, v5, v89, vcc_lo
	v_add_co_u32 v90, vcc_lo, v4, v90
	v_lshlrev_b64 v[46:47], 3, v[46:47]
	v_mov_b32_e32 v45, v96
	v_add_co_ci_u32_e32 v91, vcc_lo, v5, v91, vcc_lo
	v_add_co_u32 v92, vcc_lo, v4, v92
	v_lshlrev_b64 v[42:43], 3, v[42:43]
	v_add_co_ci_u32_e32 v93, vcc_lo, v5, v93, vcc_lo
	v_lshlrev_b64 v[44:45], 3, v[44:45]
	v_add_co_u32 v46, vcc_lo, v4, v46
	v_add_co_ci_u32_e32 v47, vcc_lo, v5, v47, vcc_lo
	v_add_co_u32 v42, vcc_lo, v4, v42
	v_add_co_ci_u32_e32 v43, vcc_lo, v5, v43, vcc_lo
	;; [unrolled: 2-line block ×3, first 2 shown]
	s_waitcnt vmcnt(4)
	v_mul_f32_e32 v21, v31, v63
	v_mul_f32_e32 v39, v17, v63
	;; [unrolled: 1-line block ×4, first 2 shown]
	s_waitcnt vmcnt(3)
	v_mul_f32_e32 v65, v23, v67
	v_mul_f32_e32 v94, v32, v69
	;; [unrolled: 1-line block ×4, first 2 shown]
	v_fmac_f32_e32 v39, v31, v62
	v_fmac_f32_e32 v63, v30, v64
	s_waitcnt vmcnt(2)
	v_mul_f32_e32 v31, v14, v71
	v_fma_f32 v17, v17, v62, -v21
	v_fma_f32 v16, v16, v64, -v35
	v_mul_f32_e32 v21, v28, v71
	v_mul_f32_e32 v30, v29, v73
	;; [unrolled: 1-line block ×3, first 2 shown]
	v_fma_f32 v9, v9, v66, -v65
	v_fma_f32 v18, v18, v68, -v94
	v_fmac_f32_e32 v67, v23, v66
	v_fmac_f32_e32 v69, v32, v68
	v_add_f32_e32 v32, v39, v63
	v_sub_f32_e32 v64, v39, v63
	s_waitcnt lgkmcnt(0)
	v_add_f32_e32 v39, v38, v39
	v_fmac_f32_e32 v31, v28, v70
	v_add_f32_e32 v62, v17, v16
	s_waitcnt vmcnt(1)
	v_mul_f32_e32 v28, v27, v75
	v_mul_f32_e32 v68, v13, v75
	v_fma_f32 v21, v14, v70, -v21
	v_fma_f32 v66, v15, v72, -v30
	v_fmac_f32_e32 v35, v29, v72
	v_mul_f32_e32 v70, v12, v77
	v_sub_f32_e32 v23, v17, v16
	v_add_f32_e32 v65, v61, v17
	v_mul_f32_e32 v29, v26, v77
	v_sub_f32_e32 v71, v9, v18
	v_add_f32_e32 v30, v67, v69
	v_add_f32_e32 v72, v9, v18
	v_sub_f32_e32 v73, v67, v69
	v_add_f32_e32 v67, v58, v67
	v_add_f32_e32 v9, v60, v9
	v_add_f32_e32 v17, v39, v63
	v_fma_f32 v63, v13, v74, -v28
	v_fmac_f32_e32 v68, v27, v74
	s_waitcnt vmcnt(0)
	v_mul_f32_e32 v74, v24, v55
	v_mul_f32_e32 v75, v25, v57
	;; [unrolled: 1-line block ×4, first 2 shown]
	v_fma_f32 v15, -0.5, v32, v38
	v_fma_f32 v14, -0.5, v62, v61
	v_sub_f32_e32 v32, v21, v66
	v_add_f32_e32 v38, v31, v35
	v_add_f32_e32 v39, v21, v66
	;; [unrolled: 1-line block ×4, first 2 shown]
	v_fmac_f32_e32 v70, v26, v76
	v_add_f32_e32 v16, v65, v16
	v_fma_f32 v65, v12, v76, -v29
	v_fma_f32 v13, -0.5, v30, v58
	v_fma_f32 v12, -0.5, v72, v60
	v_add_f32_e32 v27, v67, v69
	v_add_f32_e32 v26, v9, v18
	v_fma_f32 v60, v10, v54, -v74
	v_fma_f32 v11, v11, v56, -v75
	v_fmac_f32_e32 v55, v24, v54
	v_fmac_f32_e32 v57, v25, v56
	v_sub_f32_e32 v61, v31, v35
	v_fma_f32 v31, -0.5, v38, v37
	v_add_f32_e32 v38, v62, v35
	v_add_f32_e32 v37, v21, v66
	;; [unrolled: 1-line block ×4, first 2 shown]
	v_fmamk_f32 v10, v71, 0x3f5db3d7, v13
	v_fmamk_f32 v9, v73, 0xbf5db3d7, v12
	v_fmac_f32_e32 v13, 0xbf5db3d7, v71
	v_fmac_f32_e32 v12, 0x3f5db3d7, v73
	global_store_dwordx2 v[19:20], v[26:27], off
	v_add_f32_e32 v25, v55, v57
	v_add_f32_e32 v26, v60, v11
	v_fmamk_f32 v29, v23, 0x3f5db3d7, v15
	v_fmac_f32_e32 v15, 0xbf5db3d7, v23
	v_add_f32_e32 v23, v63, v65
	v_fma_f32 v21, -0.5, v21, v36
	v_add_f32_e32 v24, v35, v70
	v_add_f32_e32 v35, v34, v55
	;; [unrolled: 1-line block ×3, first 2 shown]
	v_fmamk_f32 v19, v32, 0x3f5db3d7, v31
	v_fmac_f32_e32 v31, 0xbf5db3d7, v32
	v_sub_f32_e32 v27, v60, v11
	v_sub_f32_e32 v32, v55, v57
	global_store_dwordx2 v[48:49], v[12:13], off
	global_store_dwordx2 v[50:51], v[9:10], off
	v_fma_f32 v10, -0.5, v25, v34
	v_fma_f32 v9, -0.5, v26, v7
	;; [unrolled: 1-line block ×3, first 2 shown]
	v_add_f32_e32 v59, v40, v63
	v_sub_f32_e32 v39, v63, v65
	v_sub_f32_e32 v58, v68, v70
	v_fma_f32 v20, -0.5, v23, v40
	v_add_f32_e32 v26, v35, v57
	v_add_f32_e32 v25, v36, v11
	v_fmamk_f32 v35, v27, 0x3f5db3d7, v10
	v_fmamk_f32 v34, v32, 0xbf5db3d7, v9
	v_fmac_f32_e32 v10, 0xbf5db3d7, v27
	v_fmac_f32_e32 v9, 0x3f5db3d7, v32
	v_add_f32_e32 v23, v59, v65
	v_fmamk_f32 v12, v39, 0x3f5db3d7, v21
	v_fmamk_f32 v11, v58, 0xbf5db3d7, v20
	v_fmac_f32_e32 v21, 0xbf5db3d7, v39
	v_fmac_f32_e32 v20, 0x3f5db3d7, v58
	v_fmamk_f32 v28, v64, 0xbf5db3d7, v14
	v_fmac_f32_e32 v14, 0x3f5db3d7, v64
	v_fmamk_f32 v18, v61, 0xbf5db3d7, v30
	v_fmac_f32_e32 v30, 0x3f5db3d7, v61
	global_store_dwordx2 v[52:53], v[25:26], off
	global_store_dwordx2 v[78:79], v[9:10], off
	;; [unrolled: 1-line block ×12, first 2 shown]
	s_and_b32 exec_lo, exec_lo, s0
	s_cbranch_execz .LBB0_34
; %bb.33:
	v_add_nc_u32_e32 v7, -9, v41
	v_mad_u64_u32 v[13:14], null, s2, v33, 0
	v_cndmask_b32_e64 v7, v7, v33, s0
	v_lshlrev_b32_e32 v21, 1, v7
	v_mov_b32_e32 v7, v14
	v_lshlrev_b64 v[9:10], 3, v[21:22]
	v_add_nc_u32_e32 v21, 0x117, v41
	v_add_nc_u32_e32 v22, 0x1a7, v41
	v_mad_u64_u32 v[19:20], null, s3, v33, v[7:8]
	v_mad_u64_u32 v[15:16], null, s2, v21, 0
	v_add_co_u32 v9, vcc_lo, s8, v9
	v_add_co_ci_u32_e32 v10, vcc_lo, s9, v10, vcc_lo
	v_mad_u64_u32 v[17:18], null, s2, v22, 0
	v_mov_b32_e32 v14, v16
	global_load_dwordx4 v[9:12], v[9:10], off offset:1128
	v_mad_u64_u32 v[20:21], null, s3, v21, v[14:15]
	v_mov_b32_e32 v7, v18
	v_mov_b32_e32 v14, v19
	v_mad_u64_u32 v[21:22], null, s3, v22, v[7:8]
	v_mov_b32_e32 v16, v20
	v_lshlrev_b64 v[13:14], 3, v[13:14]
	v_lshlrev_b64 v[15:16], 3, v[15:16]
	v_mov_b32_e32 v18, v21
	v_lshlrev_b64 v[17:18], 3, v[17:18]
	s_waitcnt vmcnt(0)
	v_mul_f32_e32 v7, v3, v10
	v_mul_f32_e32 v10, v1, v10
	;; [unrolled: 1-line block ×4, first 2 shown]
	v_fma_f32 v1, v1, v9, -v7
	v_fmac_f32_e32 v10, v3, v9
	v_fma_f32 v3, v6, v11, -v19
	v_fmac_f32_e32 v12, v8, v11
	v_add_co_u32 v6, vcc_lo, v4, v13
	v_add_f32_e32 v9, v0, v1
	v_add_f32_e32 v8, v1, v3
	v_add_f32_e32 v11, v10, v12
	v_sub_f32_e32 v13, v10, v12
	v_add_f32_e32 v10, v2, v10
	v_sub_f32_e32 v1, v1, v3
	v_fmac_f32_e32 v0, -0.5, v8
	v_fmac_f32_e32 v2, -0.5, v11
	v_add_co_ci_u32_e32 v7, vcc_lo, v5, v14, vcc_lo
	v_add_f32_e32 v8, v9, v3
	v_add_f32_e32 v9, v10, v12
	v_fmamk_f32 v11, v1, 0xbf5db3d7, v2
	v_fmac_f32_e32 v2, 0x3f5db3d7, v1
	v_add_co_u32 v12, vcc_lo, v4, v15
	v_fmamk_f32 v10, v13, 0x3f5db3d7, v0
	v_fmac_f32_e32 v0, 0xbf5db3d7, v13
	v_add_co_ci_u32_e32 v13, vcc_lo, v5, v16, vcc_lo
	v_add_co_u32 v3, vcc_lo, v4, v17
	v_add_co_ci_u32_e32 v4, vcc_lo, v5, v18, vcc_lo
	v_mov_b32_e32 v1, v2
	global_store_dwordx2 v[6:7], v[8:9], off
	global_store_dwordx2 v[12:13], v[10:11], off
	;; [unrolled: 1-line block ×3, first 2 shown]
.LBB0_34:
	s_endpgm
	.section	.rodata,"a",@progbits
	.p2align	6, 0x0
	.amdhsa_kernel fft_rtc_fwd_len432_factors_3_16_3_3_wgs_54_tpt_27_halfLds_sp_ip_CI_sbrr_dirReg
		.amdhsa_group_segment_fixed_size 0
		.amdhsa_private_segment_fixed_size 0
		.amdhsa_kernarg_size 88
		.amdhsa_user_sgpr_count 6
		.amdhsa_user_sgpr_private_segment_buffer 1
		.amdhsa_user_sgpr_dispatch_ptr 0
		.amdhsa_user_sgpr_queue_ptr 0
		.amdhsa_user_sgpr_kernarg_segment_ptr 1
		.amdhsa_user_sgpr_dispatch_id 0
		.amdhsa_user_sgpr_flat_scratch_init 0
		.amdhsa_user_sgpr_private_segment_size 0
		.amdhsa_wavefront_size32 1
		.amdhsa_uses_dynamic_stack 0
		.amdhsa_system_sgpr_private_segment_wavefront_offset 0
		.amdhsa_system_sgpr_workgroup_id_x 1
		.amdhsa_system_sgpr_workgroup_id_y 0
		.amdhsa_system_sgpr_workgroup_id_z 0
		.amdhsa_system_sgpr_workgroup_info 0
		.amdhsa_system_vgpr_workitem_id 0
		.amdhsa_next_free_vgpr 111
		.amdhsa_next_free_sgpr 23
		.amdhsa_reserve_vcc 1
		.amdhsa_reserve_flat_scratch 0
		.amdhsa_float_round_mode_32 0
		.amdhsa_float_round_mode_16_64 0
		.amdhsa_float_denorm_mode_32 3
		.amdhsa_float_denorm_mode_16_64 3
		.amdhsa_dx10_clamp 1
		.amdhsa_ieee_mode 1
		.amdhsa_fp16_overflow 0
		.amdhsa_workgroup_processor_mode 1
		.amdhsa_memory_ordered 1
		.amdhsa_forward_progress 0
		.amdhsa_shared_vgpr_count 0
		.amdhsa_exception_fp_ieee_invalid_op 0
		.amdhsa_exception_fp_denorm_src 0
		.amdhsa_exception_fp_ieee_div_zero 0
		.amdhsa_exception_fp_ieee_overflow 0
		.amdhsa_exception_fp_ieee_underflow 0
		.amdhsa_exception_fp_ieee_inexact 0
		.amdhsa_exception_int_div_zero 0
	.end_amdhsa_kernel
	.text
.Lfunc_end0:
	.size	fft_rtc_fwd_len432_factors_3_16_3_3_wgs_54_tpt_27_halfLds_sp_ip_CI_sbrr_dirReg, .Lfunc_end0-fft_rtc_fwd_len432_factors_3_16_3_3_wgs_54_tpt_27_halfLds_sp_ip_CI_sbrr_dirReg
                                        ; -- End function
	.section	.AMDGPU.csdata,"",@progbits
; Kernel info:
; codeLenInByte = 9096
; NumSgprs: 25
; NumVgprs: 111
; ScratchSize: 0
; MemoryBound: 0
; FloatMode: 240
; IeeeMode: 1
; LDSByteSize: 0 bytes/workgroup (compile time only)
; SGPRBlocks: 3
; VGPRBlocks: 13
; NumSGPRsForWavesPerEU: 25
; NumVGPRsForWavesPerEU: 111
; Occupancy: 9
; WaveLimiterHint : 1
; COMPUTE_PGM_RSRC2:SCRATCH_EN: 0
; COMPUTE_PGM_RSRC2:USER_SGPR: 6
; COMPUTE_PGM_RSRC2:TRAP_HANDLER: 0
; COMPUTE_PGM_RSRC2:TGID_X_EN: 1
; COMPUTE_PGM_RSRC2:TGID_Y_EN: 0
; COMPUTE_PGM_RSRC2:TGID_Z_EN: 0
; COMPUTE_PGM_RSRC2:TIDIG_COMP_CNT: 0
	.text
	.p2alignl 6, 3214868480
	.fill 48, 4, 3214868480
	.type	__hip_cuid_b73408c6b39c40b,@object ; @__hip_cuid_b73408c6b39c40b
	.section	.bss,"aw",@nobits
	.globl	__hip_cuid_b73408c6b39c40b
__hip_cuid_b73408c6b39c40b:
	.byte	0                               ; 0x0
	.size	__hip_cuid_b73408c6b39c40b, 1

	.ident	"AMD clang version 19.0.0git (https://github.com/RadeonOpenCompute/llvm-project roc-6.4.0 25133 c7fe45cf4b819c5991fe208aaa96edf142730f1d)"
	.section	".note.GNU-stack","",@progbits
	.addrsig
	.addrsig_sym __hip_cuid_b73408c6b39c40b
	.amdgpu_metadata
---
amdhsa.kernels:
  - .args:
      - .actual_access:  read_only
        .address_space:  global
        .offset:         0
        .size:           8
        .value_kind:     global_buffer
      - .offset:         8
        .size:           8
        .value_kind:     by_value
      - .actual_access:  read_only
        .address_space:  global
        .offset:         16
        .size:           8
        .value_kind:     global_buffer
      - .actual_access:  read_only
        .address_space:  global
        .offset:         24
        .size:           8
        .value_kind:     global_buffer
      - .offset:         32
        .size:           8
        .value_kind:     by_value
      - .actual_access:  read_only
        .address_space:  global
        .offset:         40
        .size:           8
        .value_kind:     global_buffer
      - .actual_access:  read_only
        .address_space:  global
        .offset:         48
        .size:           8
        .value_kind:     global_buffer
      - .offset:         56
        .size:           4
        .value_kind:     by_value
      - .actual_access:  read_only
        .address_space:  global
        .offset:         64
        .size:           8
        .value_kind:     global_buffer
      - .actual_access:  read_only
        .address_space:  global
        .offset:         72
        .size:           8
        .value_kind:     global_buffer
      - .address_space:  global
        .offset:         80
        .size:           8
        .value_kind:     global_buffer
    .group_segment_fixed_size: 0
    .kernarg_segment_align: 8
    .kernarg_segment_size: 88
    .language:       OpenCL C
    .language_version:
      - 2
      - 0
    .max_flat_workgroup_size: 54
    .name:           fft_rtc_fwd_len432_factors_3_16_3_3_wgs_54_tpt_27_halfLds_sp_ip_CI_sbrr_dirReg
    .private_segment_fixed_size: 0
    .sgpr_count:     25
    .sgpr_spill_count: 0
    .symbol:         fft_rtc_fwd_len432_factors_3_16_3_3_wgs_54_tpt_27_halfLds_sp_ip_CI_sbrr_dirReg.kd
    .uniform_work_group_size: 1
    .uses_dynamic_stack: false
    .vgpr_count:     111
    .vgpr_spill_count: 0
    .wavefront_size: 32
    .workgroup_processor_mode: 1
amdhsa.target:   amdgcn-amd-amdhsa--gfx1030
amdhsa.version:
  - 1
  - 2
...

	.end_amdgpu_metadata
